;; amdgpu-corpus repo=ROCm/rocFFT kind=compiled arch=gfx1030 opt=O3
	.text
	.amdgcn_target "amdgcn-amd-amdhsa--gfx1030"
	.amdhsa_code_object_version 6
	.protected	fft_rtc_back_len1100_factors_2_2_11_5_5_wgs_110_tpt_110_dp_ip_CI_sbrr_dirReg ; -- Begin function fft_rtc_back_len1100_factors_2_2_11_5_5_wgs_110_tpt_110_dp_ip_CI_sbrr_dirReg
	.globl	fft_rtc_back_len1100_factors_2_2_11_5_5_wgs_110_tpt_110_dp_ip_CI_sbrr_dirReg
	.p2align	8
	.type	fft_rtc_back_len1100_factors_2_2_11_5_5_wgs_110_tpt_110_dp_ip_CI_sbrr_dirReg,@function
fft_rtc_back_len1100_factors_2_2_11_5_5_wgs_110_tpt_110_dp_ip_CI_sbrr_dirReg: ; @fft_rtc_back_len1100_factors_2_2_11_5_5_wgs_110_tpt_110_dp_ip_CI_sbrr_dirReg
; %bb.0:
	s_clause 0x2
	s_load_dwordx2 s[14:15], s[4:5], 0x18
	s_load_dwordx4 s[8:11], s[4:5], 0x0
	s_load_dwordx2 s[12:13], s[4:5], 0x50
	v_mul_u32_u24_e32 v1, 0x254, v0
	v_mov_b32_e32 v3, 0
	v_add_nc_u32_sdwa v5, s6, v1 dst_sel:DWORD dst_unused:UNUSED_PAD src0_sel:DWORD src1_sel:WORD_1
	v_mov_b32_e32 v1, 0
	v_mov_b32_e32 v6, v3
	v_mov_b32_e32 v2, 0
	s_waitcnt lgkmcnt(0)
	s_load_dwordx2 s[2:3], s[14:15], 0x0
	v_cmp_lt_u64_e64 s0, s[10:11], 2
	s_and_b32 vcc_lo, exec_lo, s0
	s_cbranch_vccnz .LBB0_8
; %bb.1:
	s_load_dwordx2 s[0:1], s[4:5], 0x10
	v_mov_b32_e32 v1, 0
	s_add_u32 s6, s14, 8
	v_mov_b32_e32 v2, 0
	s_addc_u32 s7, s15, 0
	s_mov_b64 s[18:19], 1
	s_waitcnt lgkmcnt(0)
	s_add_u32 s16, s0, 8
	s_addc_u32 s17, s1, 0
.LBB0_2:                                ; =>This Inner Loop Header: Depth=1
	s_load_dwordx2 s[20:21], s[16:17], 0x0
                                        ; implicit-def: $vgpr7_vgpr8
	s_mov_b32 s0, exec_lo
	s_waitcnt lgkmcnt(0)
	v_or_b32_e32 v4, s21, v6
	v_cmpx_ne_u64_e32 0, v[3:4]
	s_xor_b32 s1, exec_lo, s0
	s_cbranch_execz .LBB0_4
; %bb.3:                                ;   in Loop: Header=BB0_2 Depth=1
	v_cvt_f32_u32_e32 v4, s20
	v_cvt_f32_u32_e32 v7, s21
	s_sub_u32 s0, 0, s20
	s_subb_u32 s22, 0, s21
	v_fmac_f32_e32 v4, 0x4f800000, v7
	v_rcp_f32_e32 v4, v4
	v_mul_f32_e32 v4, 0x5f7ffffc, v4
	v_mul_f32_e32 v7, 0x2f800000, v4
	v_trunc_f32_e32 v7, v7
	v_fmac_f32_e32 v4, 0xcf800000, v7
	v_cvt_u32_f32_e32 v7, v7
	v_cvt_u32_f32_e32 v4, v4
	v_mul_lo_u32 v8, s0, v7
	v_mul_hi_u32 v9, s0, v4
	v_mul_lo_u32 v10, s22, v4
	v_add_nc_u32_e32 v8, v9, v8
	v_mul_lo_u32 v9, s0, v4
	v_add_nc_u32_e32 v8, v8, v10
	v_mul_hi_u32 v10, v4, v9
	v_mul_lo_u32 v11, v4, v8
	v_mul_hi_u32 v12, v4, v8
	v_mul_hi_u32 v13, v7, v9
	v_mul_lo_u32 v9, v7, v9
	v_mul_hi_u32 v14, v7, v8
	v_mul_lo_u32 v8, v7, v8
	v_add_co_u32 v10, vcc_lo, v10, v11
	v_add_co_ci_u32_e32 v11, vcc_lo, 0, v12, vcc_lo
	v_add_co_u32 v9, vcc_lo, v10, v9
	v_add_co_ci_u32_e32 v9, vcc_lo, v11, v13, vcc_lo
	v_add_co_ci_u32_e32 v10, vcc_lo, 0, v14, vcc_lo
	v_add_co_u32 v8, vcc_lo, v9, v8
	v_add_co_ci_u32_e32 v9, vcc_lo, 0, v10, vcc_lo
	v_add_co_u32 v4, vcc_lo, v4, v8
	v_add_co_ci_u32_e32 v7, vcc_lo, v7, v9, vcc_lo
	v_mul_hi_u32 v8, s0, v4
	v_mul_lo_u32 v10, s22, v4
	v_mul_lo_u32 v9, s0, v7
	v_add_nc_u32_e32 v8, v8, v9
	v_mul_lo_u32 v9, s0, v4
	v_add_nc_u32_e32 v8, v8, v10
	v_mul_hi_u32 v10, v4, v9
	v_mul_lo_u32 v11, v4, v8
	v_mul_hi_u32 v12, v4, v8
	v_mul_hi_u32 v13, v7, v9
	v_mul_lo_u32 v9, v7, v9
	v_mul_hi_u32 v14, v7, v8
	v_mul_lo_u32 v8, v7, v8
	v_add_co_u32 v10, vcc_lo, v10, v11
	v_add_co_ci_u32_e32 v11, vcc_lo, 0, v12, vcc_lo
	v_add_co_u32 v9, vcc_lo, v10, v9
	v_add_co_ci_u32_e32 v9, vcc_lo, v11, v13, vcc_lo
	v_add_co_ci_u32_e32 v10, vcc_lo, 0, v14, vcc_lo
	v_add_co_u32 v8, vcc_lo, v9, v8
	v_add_co_ci_u32_e32 v9, vcc_lo, 0, v10, vcc_lo
	v_add_co_u32 v4, vcc_lo, v4, v8
	v_add_co_ci_u32_e32 v11, vcc_lo, v7, v9, vcc_lo
	v_mul_hi_u32 v13, v5, v4
	v_mad_u64_u32 v[9:10], null, v6, v4, 0
	v_mad_u64_u32 v[7:8], null, v5, v11, 0
	;; [unrolled: 1-line block ×3, first 2 shown]
	v_add_co_u32 v4, vcc_lo, v13, v7
	v_add_co_ci_u32_e32 v7, vcc_lo, 0, v8, vcc_lo
	v_add_co_u32 v4, vcc_lo, v4, v9
	v_add_co_ci_u32_e32 v4, vcc_lo, v7, v10, vcc_lo
	v_add_co_ci_u32_e32 v7, vcc_lo, 0, v12, vcc_lo
	v_add_co_u32 v4, vcc_lo, v4, v11
	v_add_co_ci_u32_e32 v9, vcc_lo, 0, v7, vcc_lo
	v_mul_lo_u32 v10, s21, v4
	v_mad_u64_u32 v[7:8], null, s20, v4, 0
	v_mul_lo_u32 v11, s20, v9
	v_sub_co_u32 v7, vcc_lo, v5, v7
	v_add3_u32 v8, v8, v11, v10
	v_sub_nc_u32_e32 v10, v6, v8
	v_subrev_co_ci_u32_e64 v10, s0, s21, v10, vcc_lo
	v_add_co_u32 v11, s0, v4, 2
	v_add_co_ci_u32_e64 v12, s0, 0, v9, s0
	v_sub_co_u32 v13, s0, v7, s20
	v_sub_co_ci_u32_e32 v8, vcc_lo, v6, v8, vcc_lo
	v_subrev_co_ci_u32_e64 v10, s0, 0, v10, s0
	v_cmp_le_u32_e32 vcc_lo, s20, v13
	v_cmp_eq_u32_e64 s0, s21, v8
	v_cndmask_b32_e64 v13, 0, -1, vcc_lo
	v_cmp_le_u32_e32 vcc_lo, s21, v10
	v_cndmask_b32_e64 v14, 0, -1, vcc_lo
	v_cmp_le_u32_e32 vcc_lo, s20, v7
	;; [unrolled: 2-line block ×3, first 2 shown]
	v_cndmask_b32_e64 v15, 0, -1, vcc_lo
	v_cmp_eq_u32_e32 vcc_lo, s21, v10
	v_cndmask_b32_e64 v7, v15, v7, s0
	v_cndmask_b32_e32 v10, v14, v13, vcc_lo
	v_add_co_u32 v13, vcc_lo, v4, 1
	v_add_co_ci_u32_e32 v14, vcc_lo, 0, v9, vcc_lo
	v_cmp_ne_u32_e32 vcc_lo, 0, v10
	v_cndmask_b32_e32 v8, v14, v12, vcc_lo
	v_cndmask_b32_e32 v10, v13, v11, vcc_lo
	v_cmp_ne_u32_e32 vcc_lo, 0, v7
	v_cndmask_b32_e32 v8, v9, v8, vcc_lo
	v_cndmask_b32_e32 v7, v4, v10, vcc_lo
.LBB0_4:                                ;   in Loop: Header=BB0_2 Depth=1
	s_andn2_saveexec_b32 s0, s1
	s_cbranch_execz .LBB0_6
; %bb.5:                                ;   in Loop: Header=BB0_2 Depth=1
	v_cvt_f32_u32_e32 v4, s20
	s_sub_i32 s1, 0, s20
	v_rcp_iflag_f32_e32 v4, v4
	v_mul_f32_e32 v4, 0x4f7ffffe, v4
	v_cvt_u32_f32_e32 v4, v4
	v_mul_lo_u32 v7, s1, v4
	v_mul_hi_u32 v7, v4, v7
	v_add_nc_u32_e32 v4, v4, v7
	v_mul_hi_u32 v4, v5, v4
	v_mul_lo_u32 v7, v4, s20
	v_add_nc_u32_e32 v8, 1, v4
	v_sub_nc_u32_e32 v7, v5, v7
	v_subrev_nc_u32_e32 v9, s20, v7
	v_cmp_le_u32_e32 vcc_lo, s20, v7
	v_cndmask_b32_e32 v7, v7, v9, vcc_lo
	v_cndmask_b32_e32 v4, v4, v8, vcc_lo
	v_cmp_le_u32_e32 vcc_lo, s20, v7
	v_add_nc_u32_e32 v8, 1, v4
	v_cndmask_b32_e32 v7, v4, v8, vcc_lo
	v_mov_b32_e32 v8, v3
.LBB0_6:                                ;   in Loop: Header=BB0_2 Depth=1
	s_or_b32 exec_lo, exec_lo, s0
	s_load_dwordx2 s[0:1], s[6:7], 0x0
	v_mul_lo_u32 v4, v8, s20
	v_mul_lo_u32 v11, v7, s21
	v_mad_u64_u32 v[9:10], null, v7, s20, 0
	s_add_u32 s18, s18, 1
	s_addc_u32 s19, s19, 0
	s_add_u32 s6, s6, 8
	s_addc_u32 s7, s7, 0
	;; [unrolled: 2-line block ×3, first 2 shown]
	v_add3_u32 v4, v10, v11, v4
	v_sub_co_u32 v5, vcc_lo, v5, v9
	v_sub_co_ci_u32_e32 v4, vcc_lo, v6, v4, vcc_lo
	s_waitcnt lgkmcnt(0)
	v_mul_lo_u32 v6, s1, v5
	v_mul_lo_u32 v4, s0, v4
	v_mad_u64_u32 v[1:2], null, s0, v5, v[1:2]
	v_cmp_ge_u64_e64 s0, s[18:19], s[10:11]
	s_and_b32 vcc_lo, exec_lo, s0
	v_add3_u32 v2, v6, v2, v4
	s_cbranch_vccnz .LBB0_9
; %bb.7:                                ;   in Loop: Header=BB0_2 Depth=1
	v_mov_b32_e32 v5, v7
	v_mov_b32_e32 v6, v8
	s_branch .LBB0_2
.LBB0_8:
	v_mov_b32_e32 v8, v6
	v_mov_b32_e32 v7, v5
.LBB0_9:
	s_lshl_b64 s[0:1], s[10:11], 3
	v_mul_hi_u32 v3, 0x253c826, v0
	s_add_u32 s0, s14, s0
	s_addc_u32 s1, s15, s1
	s_load_dwordx2 s[4:5], s[4:5], 0x20
	s_load_dwordx2 s[0:1], s[0:1], 0x0
                                        ; implicit-def: $vgpr74
                                        ; implicit-def: $vgpr42
                                        ; implicit-def: $vgpr41
	v_mul_u32_u24_e32 v3, 0x6e, v3
	v_sub_nc_u32_e32 v69, v0, v3
	v_add_nc_u32_e32 v68, 0x6e, v69
	v_add_nc_u32_e32 v70, 0xdc, v69
	v_add_nc_u32_e32 v40, 0x14a, v69
	v_add_nc_u32_e32 v71, 0x1b8, v69
	s_waitcnt lgkmcnt(0)
	v_cmp_gt_u64_e32 vcc_lo, s[4:5], v[7:8]
	v_mul_lo_u32 v3, s0, v8
	v_mul_lo_u32 v4, s1, v7
	v_mad_u64_u32 v[0:1], null, s0, v7, v[1:2]
	v_cmp_le_u64_e64 s0, s[4:5], v[7:8]
	v_add3_u32 v1, v4, v1, v3
	s_and_saveexec_b32 s1, s0
	s_xor_b32 s0, exec_lo, s1
; %bb.10:
	v_add_nc_u32_e32 v74, 0x6e, v69
	v_add_nc_u32_e32 v42, 0xdc, v69
	;; [unrolled: 1-line block ×4, first 2 shown]
; %bb.11:
	s_or_saveexec_b32 s1, s0
	v_lshlrev_b64 v[52:53], 4, v[0:1]
	v_add_nc_u32_e32 v72, 0x294, v69
	v_add_nc_u32_e32 v73, 0x370, v69
                                        ; implicit-def: $vgpr30_vgpr31
                                        ; implicit-def: $vgpr18_vgpr19
                                        ; implicit-def: $vgpr34_vgpr35
                                        ; implicit-def: $vgpr22_vgpr23
                                        ; implicit-def: $vgpr38_vgpr39
                                        ; implicit-def: $vgpr26_vgpr27
                                        ; implicit-def: $vgpr14_vgpr15
                                        ; implicit-def: $vgpr10_vgpr11
                                        ; implicit-def: $vgpr6_vgpr7
                                        ; implicit-def: $vgpr2_vgpr3
	s_xor_b32 exec_lo, exec_lo, s1
	s_cbranch_execz .LBB0_13
; %bb.12:
	v_add_nc_u32_e32 v6, 0x226, v69
	v_mad_u64_u32 v[0:1], null, s2, v69, 0
	v_mad_u64_u32 v[8:9], null, s2, v68, 0
	;; [unrolled: 1-line block ×4, first 2 shown]
	v_add_co_u32 v32, s0, s12, v52
	v_mad_u64_u32 v[16:17], null, s2, v70, 0
	v_mad_u64_u32 v[4:5], null, s3, v69, v[1:2]
	v_mov_b32_e32 v1, v3
	v_add_nc_u32_e32 v22, 0x302, v69
	v_add_co_ci_u32_e64 v33, s0, s13, v53, s0
	v_mad_u64_u32 v[20:21], null, s2, v40, 0
	v_mad_u64_u32 v[5:6], null, s3, v6, v[1:2]
	v_mov_b32_e32 v1, v4
	v_mov_b32_e32 v4, v9
	;; [unrolled: 1-line block ×3, first 2 shown]
	v_mad_u64_u32 v[18:19], null, s2, v22, 0
	v_lshlrev_b64 v[0:1], 4, v[0:1]
	v_mov_b32_e32 v3, v5
	v_mad_u64_u32 v[4:5], null, s3, v68, v[4:5]
	v_mad_u64_u32 v[11:12], null, s3, v72, v[6:7]
	v_lshlrev_b64 v[2:3], 4, v[2:3]
	v_add_co_u32 v0, s0, v32, v0
	v_add_co_ci_u32_e64 v1, s0, v33, v1, s0
	v_mov_b32_e32 v9, v4
	v_add_co_u32 v5, s0, v32, v2
	v_mov_b32_e32 v12, v17
	v_lshlrev_b64 v[10:11], 4, v[10:11]
	v_lshlrev_b64 v[8:9], 4, v[8:9]
	v_add_co_ci_u32_e64 v6, s0, v33, v3, s0
	v_mad_u64_u32 v[12:13], null, s3, v70, v[12:13]
	v_mov_b32_e32 v13, v19
	v_add_co_u32 v8, s0, v32, v8
	v_add_co_ci_u32_e64 v9, s0, v33, v9, s0
	v_add_co_u32 v14, s0, v32, v10
	v_add_nc_u32_e32 v30, 0x3de, v69
	v_mad_u64_u32 v[25:26], null, s2, v71, 0
	v_mad_u64_u32 v[22:23], null, s3, v22, v[13:14]
	;; [unrolled: 1-line block ×3, first 2 shown]
	v_mov_b32_e32 v17, v12
	v_add_co_ci_u32_e64 v15, s0, v33, v11, s0
	s_clause 0x1
	global_load_dwordx4 v[0:3], v[0:1], off
	global_load_dwordx4 v[4:7], v[5:6], off
	v_mov_b32_e32 v19, v22
	v_mad_u64_u32 v[21:22], null, s3, v40, v[21:22]
	v_mov_b32_e32 v22, v24
	v_lshlrev_b64 v[16:17], 4, v[16:17]
	v_lshlrev_b64 v[18:19], 4, v[18:19]
	s_clause 0x1
	global_load_dwordx4 v[8:11], v[8:9], off
	global_load_dwordx4 v[12:15], v[14:15], off
	v_mov_b32_e32 v74, v68
	v_mad_u64_u32 v[27:28], null, s3, v73, v[22:23]
	v_mad_u64_u32 v[28:29], null, s2, v30, 0
	v_mov_b32_e32 v22, v26
	v_add_co_u32 v16, s0, v32, v16
	v_lshlrev_b64 v[20:21], 4, v[20:21]
	v_mov_b32_e32 v24, v27
	v_mad_u64_u32 v[26:27], null, s3, v71, v[22:23]
	v_mov_b32_e32 v22, v29
	v_add_co_ci_u32_e64 v17, s0, v33, v17, s0
	v_add_co_u32 v18, s0, v32, v18
	v_mad_u64_u32 v[29:30], null, s3, v30, v[22:23]
	v_lshlrev_b64 v[22:23], 4, v[23:24]
	v_add_co_ci_u32_e64 v19, s0, v33, v19, s0
	v_add_co_u32 v20, s0, v32, v20
	v_add_co_ci_u32_e64 v21, s0, v33, v21, s0
	v_lshlrev_b64 v[24:25], 4, v[25:26]
	v_add_co_u32 v30, s0, v32, v22
	v_add_co_ci_u32_e64 v31, s0, v33, v23, s0
	v_lshlrev_b64 v[22:23], 4, v[28:29]
	v_add_co_u32 v28, s0, v32, v24
	v_add_co_ci_u32_e64 v29, s0, v33, v25, s0
	v_add_co_u32 v41, s0, v32, v22
	v_add_co_ci_u32_e64 v42, s0, v33, v23, s0
	s_clause 0x5
	global_load_dwordx4 v[24:27], v[16:17], off
	global_load_dwordx4 v[36:39], v[18:19], off
	;; [unrolled: 1-line block ×6, first 2 shown]
	v_mov_b32_e32 v41, v71
	v_mov_b32_e32 v42, v70
.LBB0_13:
	s_or_b32 exec_lo, exec_lo, s1
	s_waitcnt vmcnt(8)
	v_add_f64 v[4:5], v[0:1], -v[4:5]
	v_add_f64 v[6:7], v[2:3], -v[6:7]
	s_waitcnt vmcnt(6)
	v_add_f64 v[12:13], v[8:9], -v[12:13]
	v_add_f64 v[14:15], v[10:11], -v[14:15]
	s_waitcnt vmcnt(4)
	v_add_f64 v[36:37], v[24:25], -v[36:37]
	v_add_f64 v[38:39], v[26:27], -v[38:39]
	s_waitcnt vmcnt(2)
	v_add_f64 v[32:33], v[20:21], -v[32:33]
	v_add_f64 v[34:35], v[22:23], -v[34:35]
	s_waitcnt vmcnt(0)
	v_add_f64 v[28:29], v[16:17], -v[28:29]
	v_add_f64 v[30:31], v[18:19], -v[30:31]
	v_and_b32_e32 v64, 1, v69
	v_lshl_add_u32 v51, v69, 5, 0
	v_lshl_add_u32 v76, v74, 5, 0
	;; [unrolled: 1-line block ×4, first 2 shown]
	v_lshlrev_b32_e32 v44, 4, v64
	v_lshl_add_u32 v78, v41, 5, 0
	v_lshlrev_b32_e32 v65, 4, v69
	v_cmp_gt_u32_e64 s0, 0x64, v69
	v_fma_f64 v[0:1], v[0:1], 2.0, -v[4:5]
	v_fma_f64 v[2:3], v[2:3], 2.0, -v[6:7]
	;; [unrolled: 1-line block ×10, first 2 shown]
	ds_write_b128 v51, v[4:7] offset:16
	ds_write_b128 v76, v[12:15] offset:16
	;; [unrolled: 1-line block ×5, first 2 shown]
	ds_write_b128 v51, v[0:3]
	ds_write_b128 v76, v[8:11]
	;; [unrolled: 1-line block ×5, first 2 shown]
	s_waitcnt lgkmcnt(0)
	s_barrier
	buffer_gl0_inv
	global_load_dwordx4 v[0:3], v44, s[8:9]
	v_sub_nc_u32_e32 v12, v51, v65
	ds_read_b128 v[4:7], v12 offset:8800
	ds_read_b128 v[8:11], v12 offset:10560
	;; [unrolled: 1-line block ×5, first 2 shown]
	ds_read_b128 v[36:39], v12
	v_lshlrev_b32_e32 v12, 4, v74
	v_lshlrev_b32_e32 v35, 4, v40
	;; [unrolled: 1-line block ×4, first 2 shown]
	v_sub_nc_u32_e32 v44, v76, v12
	v_sub_nc_u32_e32 v66, v43, v35
	;; [unrolled: 1-line block ×4, first 2 shown]
	ds_read_b128 v[43:46], v44
	ds_read_b128 v[47:50], v47
	s_waitcnt vmcnt(0) lgkmcnt(7)
	v_mul_f64 v[27:28], v[6:7], v[2:3]
	v_mul_f64 v[29:30], v[4:5], v[2:3]
	s_waitcnt lgkmcnt(6)
	v_mul_f64 v[31:32], v[10:11], v[2:3]
	v_mul_f64 v[33:34], v[8:9], v[2:3]
	s_waitcnt lgkmcnt(5)
	;; [unrolled: 3-line block ×4, first 2 shown]
	v_mul_f64 v[62:63], v[25:26], v[2:3]
	v_mul_f64 v[2:3], v[23:24], v[2:3]
	v_fma_f64 v[4:5], v[4:5], v[0:1], v[27:28]
	v_fma_f64 v[6:7], v[6:7], v[0:1], -v[29:30]
	v_fma_f64 v[8:9], v[8:9], v[0:1], v[31:32]
	v_fma_f64 v[10:11], v[10:11], v[0:1], -v[33:34]
	;; [unrolled: 2-line block ×5, first 2 shown]
	ds_read_b128 v[15:18], v66
	ds_read_b128 v[54:57], v67
	v_lshlrev_b32_e32 v60, 1, v41
	v_lshlrev_b32_e32 v19, 1, v74
	v_sub_nc_u32_e32 v61, 0, v65
	s_waitcnt lgkmcnt(0)
	s_barrier
	buffer_gl0_inv
	v_add_nc_u32_e32 v75, v51, v61
	v_add_f64 v[20:21], v[36:37], -v[4:5]
	v_add_f64 v[22:23], v[38:39], -v[6:7]
	v_add_f64 v[24:25], v[43:44], -v[8:9]
	v_add_f64 v[26:27], v[45:46], -v[10:11]
	v_add_f64 v[28:29], v[47:48], -v[28:29]
	v_add_f64 v[30:31], v[49:50], -v[30:31]
	v_add_f64 v[32:33], v[15:16], -v[32:33]
	v_add_f64 v[34:35], v[17:18], -v[34:35]
	v_add_f64 v[4:5], v[54:55], -v[58:59]
	v_add_f64 v[6:7], v[56:57], -v[0:1]
	v_lshlrev_b32_e32 v0, 1, v69
	v_lshlrev_b32_e32 v58, 1, v42
	;; [unrolled: 1-line block ×3, first 2 shown]
	v_and_or_b32 v62, 0xfc, v0, v64
	v_fma_f64 v[0:1], v[36:37], 2.0, -v[20:21]
	v_fma_f64 v[2:3], v[38:39], 2.0, -v[22:23]
	;; [unrolled: 1-line block ×6, first 2 shown]
                                        ; implicit-def: $vgpr50_vgpr51
	v_fma_f64 v[40:41], v[15:16], 2.0, -v[32:33]
	v_fma_f64 v[42:43], v[17:18], 2.0, -v[34:35]
	;; [unrolled: 1-line block ×4, first 2 shown]
	v_and_or_b32 v15, 0x1fc, v19, v64
	v_and_or_b32 v16, 0x3fc, v58, v64
	;; [unrolled: 1-line block ×4, first 2 shown]
	v_lshl_add_u32 v19, v62, 4, 0
	v_lshl_add_u32 v15, v15, 4, 0
	;; [unrolled: 1-line block ×5, first 2 shown]
	ds_write_b128 v19, v[20:23] offset:32
	ds_write_b128 v19, v[0:3]
	ds_write_b128 v15, v[8:11]
	ds_write_b128 v15, v[24:27] offset:32
	ds_write_b128 v16, v[36:39]
	ds_write_b128 v16, v[28:31] offset:32
	ds_write_b128 v17, v[40:43]
	ds_write_b128 v17, v[32:35] offset:32
	ds_write_b128 v18, v[44:47]
	ds_write_b128 v18, v[4:7] offset:32
	s_waitcnt lgkmcnt(0)
	s_barrier
	buffer_gl0_inv
	s_and_saveexec_b32 s1, s0
	s_cbranch_execz .LBB0_15
; %bb.14:
	ds_read_b128 v[0:3], v75
	ds_read_b128 v[20:23], v75 offset:1600
	ds_read_b128 v[8:11], v75 offset:3200
	;; [unrolled: 1-line block ×10, first 2 shown]
.LBB0_15:
	s_or_b32 exec_lo, exec_lo, s1
	v_sub_nc_u32_e32 v79, 0, v12
	v_sub_nc_u32_e32 v80, 0, v13
	;; [unrolled: 1-line block ×3, first 2 shown]
	s_waitcnt lgkmcnt(0)
	s_barrier
	buffer_gl0_inv
	s_and_saveexec_b32 s33, s0
	s_cbranch_execz .LBB0_17
; %bb.16:
	v_and_b32_e32 v82, 3, v69
	s_mov_b32 s20, 0xbb3a28a1
	s_mov_b32 s22, 0xf8bb580b
	;; [unrolled: 1-line block ×4, first 2 shown]
	v_mul_u32_u24_e32 v12, 10, v82
	s_mov_b32 s21, 0xbfe82f19
	s_mov_b32 s23, 0x3fe14ced
	;; [unrolled: 1-line block ×4, first 2 shown]
	v_lshlrev_b32_e32 v16, 4, v12
	s_mov_b32 s26, s22
	s_mov_b32 s17, 0xbfefac9e
	;; [unrolled: 1-line block ×4, first 2 shown]
	s_clause 0x9
	global_load_dwordx4 v[56:59], v16, s[8:9] offset:96
	global_load_dwordx4 v[83:86], v16, s[8:9] offset:112
	;; [unrolled: 1-line block ×10, first 2 shown]
	s_mov_b32 s31, 0x3fd207e7
	s_mov_b32 s30, s24
	;; [unrolled: 1-line block ×14, first 2 shown]
	s_waitcnt vmcnt(9)
	v_mul_f64 v[54:55], v[30:31], v[58:59]
	v_mul_f64 v[58:59], v[28:29], v[58:59]
	s_waitcnt vmcnt(8)
	v_mul_f64 v[111:112], v[42:43], v[85:86]
	v_mul_f64 v[85:86], v[40:41], v[85:86]
	s_waitcnt vmcnt(5)
	v_mul_f64 v[117:118], v[22:23], v[97:98]
	s_waitcnt vmcnt(4)
	v_mul_f64 v[119:120], v[50:51], v[101:102]
	v_mul_f64 v[97:98], v[20:21], v[97:98]
	;; [unrolled: 1-line block ×3, first 2 shown]
	s_waitcnt vmcnt(1)
	v_mul_f64 v[60:61], v[10:11], v[14:15]
	s_waitcnt vmcnt(0)
	v_mul_f64 v[62:63], v[6:7], v[18:19]
	v_mul_f64 v[64:65], v[8:9], v[14:15]
	;; [unrolled: 1-line block ×11, first 2 shown]
	v_fma_f64 v[54:55], v[28:29], v[56:57], v[54:55]
	v_fma_f64 v[56:57], v[30:31], v[56:57], -v[58:59]
	v_fma_f64 v[40:41], v[40:41], v[83:84], v[111:112]
	v_fma_f64 v[42:43], v[42:43], v[83:84], -v[85:86]
	v_fma_f64 v[58:59], v[20:21], v[95:96], v[117:118]
	v_fma_f64 v[14:15], v[48:49], v[99:100], v[119:120]
	v_fma_f64 v[22:23], v[22:23], v[95:96], -v[97:98]
	v_fma_f64 v[18:19], v[50:51], v[99:100], -v[101:102]
	v_fma_f64 v[8:9], v[8:9], v[12:13], v[60:61]
	v_fma_f64 v[4:5], v[4:5], v[16:17], v[62:63]
	v_fma_f64 v[10:11], v[10:11], v[12:13], -v[64:65]
	v_fma_f64 v[6:7], v[6:7], v[16:17], -v[66:67]
	v_fma_f64 v[36:37], v[36:37], v[87:88], v[113:114]
	v_fma_f64 v[38:39], v[38:39], v[87:88], -v[89:90]
	v_fma_f64 v[28:29], v[32:33], v[91:92], v[115:116]
	;; [unrolled: 2-line block ×4, first 2 shown]
	v_fma_f64 v[24:25], v[46:47], v[107:108], -v[109:110]
	v_lshrrev_b32_e32 v34, 2, v69
	v_add_f64 v[44:45], v[54:55], -v[40:41]
	v_mul_u32_u24_e32 v251, 44, v34
	v_add_f64 v[46:47], v[56:57], -v[42:43]
	v_add_f64 v[16:17], v[58:59], -v[14:15]
	v_add_f64 v[64:65], v[58:59], v[14:15]
	v_add_f64 v[60:61], v[22:23], -v[18:19]
	v_add_f64 v[62:63], v[22:23], v[18:19]
	v_add_f64 v[22:23], v[2:3], v[22:23]
	;; [unrolled: 1-line block ×3, first 2 shown]
	v_add_f64 v[91:92], v[8:9], -v[4:5]
	v_add_f64 v[93:94], v[10:11], v[6:7]
	v_add_f64 v[95:96], v[10:11], -v[6:7]
	v_add_f64 v[97:98], v[8:9], v[4:5]
	v_add_f64 v[12:13], v[36:37], -v[28:29]
	v_add_f64 v[34:35], v[38:39], -v[30:31]
	v_add_f64 v[99:100], v[54:55], v[40:41]
	v_add_f64 v[48:49], v[32:33], -v[20:21]
	v_add_f64 v[50:51], v[26:27], -v[24:25]
	v_add_f64 v[66:67], v[26:27], v[24:25]
	v_add_f64 v[83:84], v[38:39], v[30:31]
	;; [unrolled: 1-line block ×4, first 2 shown]
	v_mul_f64 v[107:108], v[44:45], s[14:15]
	v_add_f64 v[89:90], v[36:37], v[28:29]
	v_mul_f64 v[111:112], v[46:47], s[14:15]
	v_mul_f64 v[103:104], v[16:17], s[24:25]
	;; [unrolled: 1-line block ×5, first 2 shown]
	v_add_f64 v[10:11], v[22:23], v[10:11]
	v_add_f64 v[8:9], v[58:59], v[8:9]
	v_mul_f64 v[127:128], v[60:61], s[26:27]
	v_mul_f64 v[109:110], v[16:17], s[20:21]
	;; [unrolled: 1-line block ×9, first 2 shown]
	s_mov_b32 s15, 0xbfed1bb4
	v_mul_f64 v[169:170], v[95:96], s[20:21]
	v_mul_f64 v[171:172], v[46:47], s[16:17]
	;; [unrolled: 1-line block ×10, first 2 shown]
	v_add_f64 v[10:11], v[10:11], v[26:27]
	v_add_f64 v[8:9], v[8:9], v[32:33]
	v_mul_f64 v[135:136], v[12:13], s[24:25]
	v_mul_f64 v[22:23], v[44:45], s[20:21]
	;; [unrolled: 1-line block ×20, first 2 shown]
	v_add_f64 v[10:11], v[10:11], v[38:39]
	v_add_f64 v[8:9], v[8:9], v[36:37]
	v_mul_f64 v[161:162], v[91:92], s[20:21]
	v_mul_f64 v[163:164], v[95:96], s[22:23]
	;; [unrolled: 1-line block ×5, first 2 shown]
	v_fma_f64 v[177:178], v[62:63], s[18:19], v[103:104]
	v_fma_f64 v[103:104], v[62:63], s[18:19], -v[103:104]
	v_fma_f64 v[183:184], v[62:63], s[10:11], v[119:120]
	v_fma_f64 v[119:120], v[62:63], s[10:11], -v[119:120]
	v_fma_f64 v[185:186], v[64:65], s[18:19], -v[121:122]
	;; [unrolled: 1-line block ×4, first 2 shown]
	v_fma_f64 v[127:128], v[64:65], s[10:11], v[127:128]
	v_fma_f64 v[179:180], v[62:63], s[6:7], v[109:110]
	v_fma_f64 v[109:110], v[62:63], s[6:7], -v[109:110]
	v_fma_f64 v[181:182], v[62:63], s[4:5], v[117:118]
	v_fma_f64 v[117:118], v[62:63], s[4:5], -v[117:118]
	;; [unrolled: 2-line block ×3, first 2 shown]
	v_fma_f64 v[125:126], v[64:65], s[4:5], v[125:126]
	v_fma_f64 v[123:124], v[64:65], s[6:7], v[123:124]
	v_fma_f64 v[241:242], v[97:98], s[18:19], -v[167:168]
	v_fma_f64 v[36:37], v[97:98], s[18:19], v[167:168]
	v_fma_f64 v[38:39], v[97:98], s[6:7], -v[169:170]
	v_fma_f64 v[167:168], v[97:98], s[6:7], v[169:170]
	v_fma_f64 v[169:170], v[99:100], s[4:5], -v[171:172]
	v_fma_f64 v[171:172], v[99:100], s[4:5], v[171:172]
	v_fma_f64 v[243:244], v[99:100], s[0:1], -v[111:112]
	v_fma_f64 v[111:112], v[99:100], s[0:1], v[111:112]
	v_fma_f64 v[245:246], v[99:100], s[6:7], -v[173:174]
	v_fma_f64 v[173:174], v[99:100], s[6:7], v[173:174]
	v_fma_f64 v[247:248], v[99:100], s[10:11], -v[175:176]
	v_fma_f64 v[175:176], v[99:100], s[10:11], v[175:176]
	v_fma_f64 v[249:250], v[99:100], s[18:19], -v[46:47]
	v_fma_f64 v[46:47], v[99:100], s[18:19], v[46:47]
	v_fma_f64 v[99:100], v[62:63], s[0:1], v[16:17]
	v_fma_f64 v[16:17], v[62:63], s[0:1], -v[16:17]
	v_fma_f64 v[62:63], v[64:65], s[0:1], -v[60:61]
	v_fma_f64 v[60:61], v[64:65], s[0:1], v[60:61]
	v_add_f64 v[10:11], v[10:11], v[56:57]
	v_add_f64 v[8:9], v[8:9], v[54:55]
	v_fma_f64 v[193:194], v[83:84], s[0:1], v[101:102]
	v_fma_f64 v[195:196], v[85:86], s[4:5], v[131:132]
	v_fma_f64 v[101:102], v[83:84], s[0:1], -v[101:102]
	v_fma_f64 v[131:132], v[85:86], s[4:5], -v[131:132]
	v_fma_f64 v[197:198], v[83:84], s[18:19], v[135:136]
	v_fma_f64 v[199:200], v[85:86], s[0:1], v[107:108]
	v_fma_f64 v[107:108], v[85:86], s[0:1], -v[107:108]
	v_fma_f64 v[201:202], v[85:86], s[6:7], v[22:23]
	v_fma_f64 v[203:204], v[85:86], s[6:7], -v[22:23]
	v_fma_f64 v[205:206], v[85:86], s[10:11], v[137:138]
	v_fma_f64 v[137:138], v[85:86], s[10:11], -v[137:138]
	v_fma_f64 v[207:208], v[85:86], s[18:19], v[44:45]
	v_fma_f64 v[44:45], v[85:86], s[18:19], -v[44:45]
	v_fma_f64 v[22:23], v[83:84], s[18:19], -v[135:136]
	v_fma_f64 v[85:86], v[83:84], s[10:11], v[139:140]
	v_fma_f64 v[135:136], v[83:84], s[10:11], -v[139:140]
	v_fma_f64 v[139:140], v[83:84], s[4:5], v[141:142]
	;; [unrolled: 2-line block ×8, first 2 shown]
	v_fma_f64 v[48:49], v[66:67], s[4:5], -v[48:49]
	v_fma_f64 v[32:33], v[87:88], s[6:7], -v[58:59]
	v_fma_f64 v[58:59], v[87:88], s[6:7], v[58:59]
	v_fma_f64 v[66:67], v[87:88], s[10:11], -v[145:146]
	v_fma_f64 v[145:146], v[87:88], s[10:11], v[145:146]
	;; [unrolled: 2-line block ×10, first 2 shown]
	v_fma_f64 v[89:90], v[93:94], s[10:11], v[155:156]
	v_fma_f64 v[155:156], v[93:94], s[10:11], -v[155:156]
	v_fma_f64 v[231:232], v[93:94], s[4:5], v[157:158]
	v_fma_f64 v[157:158], v[93:94], s[4:5], -v[157:158]
	;; [unrolled: 2-line block ×4, first 2 shown]
	v_fma_f64 v[237:238], v[97:98], s[10:11], -v[163:164]
	v_fma_f64 v[163:164], v[97:98], s[10:11], v[163:164]
	v_fma_f64 v[239:240], v[97:98], s[4:5], -v[165:166]
	v_fma_f64 v[165:166], v[97:98], s[4:5], v[165:166]
	v_fma_f64 v[64:65], v[93:94], s[0:1], v[91:92]
	v_fma_f64 v[91:92], v[93:94], s[0:1], -v[91:92]
	v_fma_f64 v[93:94], v[97:98], s[0:1], -v[95:96]
	v_fma_f64 v[54:55], v[97:98], s[0:1], v[95:96]
	v_add_f64 v[56:57], v[2:3], v[177:178]
	v_add_f64 v[95:96], v[0:1], v[185:186]
	;; [unrolled: 1-line block ×110, first 2 shown]
	v_or_b32_e32 v12, v251, v82
	v_lshl_add_u32 v12, v12, 4, 0
	ds_write_b128 v12, v[32:35] offset:64
	ds_write_b128 v12, v[28:31] offset:192
	ds_write_b128 v12, v[20:23] offset:256
	ds_write_b128 v12, v[4:7] offset:320
	ds_write_b128 v12, v[0:3] offset:384
	ds_write_b128 v12, v[8:11] offset:448
	ds_write_b128 v12, v[24:27] offset:512
	ds_write_b128 v12, v[40:43] offset:128
	ds_write_b128 v12, v[36:39] offset:576
	ds_write_b128 v12, v[44:47]
	ds_write_b128 v12, v[14:17] offset:640
.LBB0_17:
	s_or_b32 exec_lo, exec_lo, s33
	v_and_b32_e32 v0, 0xff, v69
	v_mov_b32_e32 v2, 6
	s_waitcnt lgkmcnt(0)
	s_barrier
	buffer_gl0_inv
	v_mul_lo_u16 v0, 0xbb, v0
	s_mov_b32 s4, 0x134454ff
	s_mov_b32 s5, 0xbfee6f0e
	;; [unrolled: 1-line block ×4, first 2 shown]
	v_lshrrev_b16 v51, 13, v0
	v_and_b32_e32 v0, 0xff, v74
	s_mov_b32 s6, 0x4755a5e
	s_mov_b32 s7, 0xbfe2cf23
	;; [unrolled: 1-line block ×3, first 2 shown]
	v_mul_lo_u16 v1, v51, 44
	v_mul_lo_u16 v0, 0xbb, v0
	s_mov_b32 s10, s6
	s_mov_b32 s0, 0x372fe950
	s_mov_b32 s1, 0x3fd3c6ef
	v_sub_nc_u16 v114, v69, v1
	v_lshrrev_b16 v115, 13, v0
	v_lshlrev_b32_sdwa v0, v2, v114 dst_sel:DWORD dst_unused:UNUSED_PAD src0_sel:DWORD src1_sel:BYTE_0
	v_mul_lo_u16 v1, v115, 44
	s_clause 0x1
	global_load_dwordx4 v[3:6], v0, s[8:9] offset:672
	global_load_dwordx4 v[7:10], v0, s[8:9] offset:688
	v_sub_nc_u16 v116, v74, v1
	s_clause 0x1
	global_load_dwordx4 v[11:14], v0, s[8:9] offset:704
	global_load_dwordx4 v[15:18], v0, s[8:9] offset:720
	v_add_nc_u32_e32 v1, v78, v81
	v_lshlrev_b32_sdwa v0, v2, v116 dst_sel:DWORD dst_unused:UNUSED_PAD src0_sel:DWORD src1_sel:BYTE_0
	v_add_nc_u32_e32 v2, v76, v79
	s_clause 0x3
	global_load_dwordx4 v[19:22], v0, s[8:9] offset:672
	global_load_dwordx4 v[23:26], v0, s[8:9] offset:688
	;; [unrolled: 1-line block ×4, first 2 shown]
	v_add_nc_u32_e32 v0, v77, v80
	ds_read_b128 v[35:38], v0
	ds_read_b128 v[39:42], v1
	ds_read_b128 v[43:46], v75 offset:10560
	ds_read_b128 v[47:50], v75 offset:14080
	;; [unrolled: 1-line block ×6, first 2 shown]
	ds_read_b128 v[84:87], v75
	s_waitcnt vmcnt(7) lgkmcnt(8)
	v_mul_f64 v[66:67], v[37:38], v[5:6]
	s_waitcnt vmcnt(6) lgkmcnt(7)
	v_mul_f64 v[77:78], v[41:42], v[9:10]
	v_mul_f64 v[9:10], v[39:40], v[9:10]
	s_waitcnt vmcnt(5) lgkmcnt(6)
	v_mul_f64 v[88:89], v[45:46], v[13:14]
	v_mul_f64 v[13:14], v[43:44], v[13:14]
	v_mul_f64 v[5:6], v[35:36], v[5:6]
	s_waitcnt vmcnt(4) lgkmcnt(5)
	v_mul_f64 v[90:91], v[47:48], v[17:18]
	v_mul_f64 v[17:18], v[49:50], v[17:18]
	s_waitcnt vmcnt(3) lgkmcnt(4)
	v_mul_f64 v[92:93], v[56:57], v[21:22]
	v_mul_f64 v[21:22], v[54:55], v[21:22]
	;; [unrolled: 3-line block ×5, first 2 shown]
	v_fma_f64 v[35:36], v[35:36], v[3:4], v[66:67]
	v_fma_f64 v[39:40], v[39:40], v[7:8], v[77:78]
	v_fma_f64 v[7:8], v[41:42], v[7:8], -v[9:10]
	v_fma_f64 v[9:10], v[43:44], v[11:12], v[88:89]
	v_fma_f64 v[11:12], v[45:46], v[11:12], -v[13:14]
	v_fma_f64 v[37:38], v[37:38], v[3:4], -v[5:6]
	ds_read_b128 v[3:6], v2
	v_fma_f64 v[41:42], v[49:50], v[15:16], -v[90:91]
	v_fma_f64 v[13:14], v[47:48], v[15:16], v[17:18]
	v_fma_f64 v[15:16], v[54:55], v[19:20], v[92:93]
	v_fma_f64 v[17:18], v[56:57], v[19:20], -v[21:22]
	v_fma_f64 v[19:20], v[58:59], v[23:24], v[94:95]
	v_fma_f64 v[21:22], v[60:61], v[23:24], -v[25:26]
	;; [unrolled: 2-line block ×4, first 2 shown]
	s_waitcnt lgkmcnt(0)
	s_barrier
	buffer_gl0_inv
	v_add_f64 v[31:32], v[84:85], v[35:36]
	v_add_f64 v[47:48], v[35:36], -v[39:40]
	v_add_f64 v[56:57], v[39:40], -v[35:36]
	v_add_f64 v[33:34], v[39:40], v[9:10]
	v_add_f64 v[62:63], v[7:8], v[11:12]
	;; [unrolled: 1-line block ×3, first 2 shown]
	v_add_f64 v[66:67], v[37:38], -v[7:8]
	v_add_f64 v[78:79], v[37:38], v[41:42]
	v_add_f64 v[54:55], v[35:36], v[13:14]
	v_add_f64 v[49:50], v[13:14], -v[9:10]
	v_add_f64 v[43:44], v[37:38], -v[41:42]
	;; [unrolled: 1-line block ×4, first 2 shown]
	v_add_f64 v[82:83], v[19:20], v[23:24]
	v_add_f64 v[94:95], v[21:22], v[25:26]
	;; [unrolled: 1-line block ×4, first 2 shown]
	v_add_f64 v[76:77], v[41:42], -v[11:12]
	v_add_f64 v[37:38], v[7:8], -v[37:38]
	;; [unrolled: 1-line block ×3, first 2 shown]
	v_add_f64 v[88:89], v[3:4], v[15:16]
	v_add_f64 v[45:46], v[7:8], -v[11:12]
	v_add_f64 v[64:65], v[39:40], -v[9:10]
	v_add_f64 v[108:109], v[5:6], v[17:18]
	v_add_f64 v[92:93], v[17:18], -v[29:30]
	v_fma_f64 v[33:34], v[33:34], -0.5, v[84:85]
	v_fma_f64 v[62:63], v[62:63], -0.5, v[86:87]
	v_add_f64 v[100:101], v[15:16], -v[19:20]
	v_add_f64 v[104:105], v[19:20], -v[15:16]
	v_fma_f64 v[78:79], v[78:79], -0.5, v[86:87]
	v_fma_f64 v[54:55], v[54:55], -0.5, v[84:85]
	v_add_f64 v[15:16], v[15:16], -v[27:28]
	v_add_f64 v[31:32], v[31:32], v[39:40]
	v_add_f64 v[39:40], v[47:48], v[49:50]
	v_add_f64 v[98:99], v[21:22], -v[25:26]
	v_fma_f64 v[82:83], v[82:83], -0.5, v[3:4]
	v_fma_f64 v[47:48], v[94:95], -0.5, v[5:6]
	v_add_f64 v[102:103], v[27:28], -v[23:24]
	v_add_f64 v[110:111], v[19:20], -v[23:24]
	v_fma_f64 v[3:4], v[90:91], -0.5, v[3:4]
	v_fma_f64 v[5:6], v[96:97], -0.5, v[5:6]
	v_add_f64 v[7:8], v[60:61], v[7:8]
	v_add_f64 v[49:50], v[56:57], v[58:59]
	;; [unrolled: 1-line block ×5, first 2 shown]
	v_add_f64 v[112:113], v[17:18], -v[21:22]
	v_fma_f64 v[66:67], v[43:44], s[4:5], v[33:34]
	v_fma_f64 v[80:81], v[35:36], s[14:15], v[62:63]
	v_add_f64 v[17:18], v[21:22], -v[17:18]
	v_add_f64 v[86:87], v[25:26], -v[29:30]
	v_add_f64 v[21:22], v[108:109], v[21:22]
	v_fma_f64 v[33:34], v[43:44], s[14:15], v[33:34]
	v_fma_f64 v[76:77], v[45:46], s[14:15], v[54:55]
	v_fma_f64 v[54:55], v[45:46], s[4:5], v[54:55]
	v_fma_f64 v[88:89], v[64:65], s[4:5], v[78:79]
	v_fma_f64 v[78:79], v[64:65], s[14:15], v[78:79]
	v_fma_f64 v[62:63], v[35:36], s[4:5], v[62:63]
	v_add_f64 v[84:85], v[29:30], -v[25:26]
	v_fma_f64 v[90:91], v[92:93], s[4:5], v[82:83]
	v_fma_f64 v[96:97], v[15:16], s[14:15], v[47:48]
	v_add_f64 v[106:107], v[23:24], -v[27:28]
	v_add_f64 v[58:59], v[100:101], v[102:103]
	v_fma_f64 v[94:95], v[98:99], s[14:15], v[3:4]
	v_fma_f64 v[100:101], v[110:111], s[4:5], v[5:6]
	v_fma_f64 v[3:4], v[98:99], s[4:5], v[3:4]
	v_fma_f64 v[5:6], v[110:111], s[14:15], v[5:6]
	v_fma_f64 v[82:83], v[92:93], s[14:15], v[82:83]
	v_fma_f64 v[47:48], v[15:16], s[4:5], v[47:48]
	v_add_f64 v[9:10], v[31:32], v[9:10]
	v_add_f64 v[7:8], v[7:8], v[11:12]
	;; [unrolled: 1-line block ×3, first 2 shown]
	v_fma_f64 v[19:20], v[45:46], s[6:7], v[66:67]
	v_fma_f64 v[31:32], v[64:65], s[10:11], v[80:81]
	v_add_f64 v[86:87], v[17:18], v[86:87]
	v_add_f64 v[17:18], v[21:22], v[25:26]
	v_fma_f64 v[21:22], v[45:46], s[10:11], v[33:34]
	v_fma_f64 v[23:24], v[43:44], s[6:7], v[76:77]
	;; [unrolled: 1-line block ×6, first 2 shown]
	v_add_f64 v[84:85], v[112:113], v[84:85]
	v_fma_f64 v[45:46], v[98:99], s[6:7], v[90:91]
	v_fma_f64 v[66:67], v[110:111], s[10:11], v[96:97]
	v_add_f64 v[60:61], v[104:105], v[106:107]
	v_fma_f64 v[62:63], v[92:93], s[6:7], v[94:95]
	v_fma_f64 v[76:77], v[15:16], s[10:11], v[100:101]
	;; [unrolled: 1-line block ×6, first 2 shown]
	v_add_f64 v[3:4], v[9:10], v[13:14]
	v_add_f64 v[5:6], v[7:8], v[41:42]
	;; [unrolled: 1-line block ×3, first 2 shown]
	v_fma_f64 v[11:12], v[39:40], s[0:1], v[19:20]
	v_fma_f64 v[13:14], v[56:57], s[0:1], v[31:32]
	v_add_f64 v[9:10], v[17:18], v[29:30]
	v_fma_f64 v[15:16], v[39:40], s[0:1], v[21:22]
	v_fma_f64 v[19:20], v[49:50], s[0:1], v[23:24]
	;; [unrolled: 1-line block ×6, first 2 shown]
	v_mov_b32_e32 v80, 0xdc0
	v_fma_f64 v[27:28], v[58:59], s[0:1], v[45:46]
	v_fma_f64 v[29:30], v[84:85], s[0:1], v[66:67]
	v_mov_b32_e32 v81, 4
	v_fma_f64 v[35:36], v[60:61], s[0:1], v[62:63]
	v_fma_f64 v[37:38], v[86:87], s[0:1], v[76:77]
	;; [unrolled: 1-line block ×6, first 2 shown]
	v_mul_u32_u24_sdwa v43, v51, v80 dst_sel:DWORD dst_unused:UNUSED_PAD src0_sel:WORD_0 src1_sel:DWORD
	v_lshlrev_b32_sdwa v44, v81, v114 dst_sel:DWORD dst_unused:UNUSED_PAD src0_sel:DWORD src1_sel:BYTE_0
	v_mul_u32_u24_sdwa v45, v115, v80 dst_sel:DWORD dst_unused:UNUSED_PAD src0_sel:WORD_0 src1_sel:DWORD
	v_lshlrev_b32_sdwa v46, v81, v116 dst_sel:DWORD dst_unused:UNUSED_PAD src0_sel:DWORD src1_sel:BYTE_0
	v_add3_u32 v43, 0, v43, v44
	v_add3_u32 v44, 0, v45, v46
	ds_write_b128 v43, v[3:6]
	ds_write_b128 v43, v[11:14] offset:704
	ds_write_b128 v43, v[19:22] offset:1408
	;; [unrolled: 1-line block ×4, first 2 shown]
	ds_write_b128 v44, v[7:10]
	ds_write_b128 v44, v[27:30] offset:704
	ds_write_b128 v44, v[35:38] offset:1408
	;; [unrolled: 1-line block ×4, first 2 shown]
	s_waitcnt lgkmcnt(0)
	s_barrier
	buffer_gl0_inv
	s_and_saveexec_b32 s16, vcc_lo
	s_cbranch_execz .LBB0_19
; %bb.18:
	v_lshlrev_b32_e32 v3, 2, v74
	v_mov_b32_e32 v4, 0
	v_mad_u64_u32 v[66:67], null, s2, v70, 0
	v_mad_u64_u32 v[88:89], null, s2, v71, 0
	v_lshlrev_b64 v[5:6], 4, v[3:4]
	v_lshlrev_b32_e32 v3, 2, v69
	v_mad_u64_u32 v[90:91], null, s2, v72, 0
	v_mad_u64_u32 v[92:93], null, s2, v73, 0
	v_add_co_u32 v5, vcc_lo, s8, v5
	v_add_co_ci_u32_e32 v6, vcc_lo, s9, v6, vcc_lo
	v_lshlrev_b64 v[11:12], 4, v[3:4]
	v_add_co_u32 v15, vcc_lo, 0xda0, v5
	v_add_co_ci_u32_e32 v16, vcc_lo, 0, v6, vcc_lo
	v_add_co_u32 v13, vcc_lo, 0x800, v5
	v_add_co_ci_u32_e32 v14, vcc_lo, 0, v6, vcc_lo
	s_clause 0x1
	global_load_dwordx4 v[3:6], v[15:16], off offset:32
	global_load_dwordx4 v[7:10], v[15:16], off offset:16
	v_add_co_u32 v19, vcc_lo, s8, v11
	v_add_co_ci_u32_e32 v20, vcc_lo, s9, v12, vcc_lo
	s_clause 0x1
	global_load_dwordx4 v[11:14], v[13:14], off offset:1440
	global_load_dwordx4 v[15:18], v[15:16], off offset:48
	v_add_co_u32 v31, vcc_lo, 0xda0, v19
	v_add_co_ci_u32_e32 v32, vcc_lo, 0, v20, vcc_lo
	v_add_co_u32 v23, vcc_lo, 0x800, v19
	v_add_co_ci_u32_e32 v24, vcc_lo, 0, v20, vcc_lo
	s_clause 0x3
	global_load_dwordx4 v[19:22], v[31:32], off offset:16
	global_load_dwordx4 v[23:26], v[23:24], off offset:1440
	;; [unrolled: 1-line block ×4, first 2 shown]
	ds_read_b128 v[35:38], v75 offset:15840
	ds_read_b128 v[39:42], v2
	ds_read_b128 v[43:46], v1
	;; [unrolled: 1-line block ×3, first 2 shown]
	ds_read_b128 v[54:57], v75 offset:8800
	ds_read_b128 v[58:61], v75 offset:10560
	;; [unrolled: 1-line block ×4, first 2 shown]
	v_lshrrev_b32_e32 v2, 2, v68
	v_mad_u64_u32 v[0:1], null, s2, v69, 0
	ds_read_b128 v[80:83], v75 offset:5280
	ds_read_b128 v[84:87], v75
	v_mov_b32_e32 v51, v89
	v_mul_hi_u32 v75, 0x94f2095, v2
	v_mov_b32_e32 v2, v67
	v_mov_b32_e32 v67, v91
	;; [unrolled: 1-line block ×3, first 2 shown]
	v_add_co_u32 v122, vcc_lo, s12, v52
	v_mad_u64_u32 v[93:94], null, s3, v69, v[1:2]
	v_lshrrev_b32_e32 v1, 1, v75
	v_add_co_ci_u32_e32 v123, vcc_lo, s13, v53, vcc_lo
	v_mad_u32_u24 v53, 0x370, v1, v68
	v_mov_b32_e32 v1, v93
	v_add_nc_u32_e32 v96, 0xdc, v53
	v_add_nc_u32_e32 v98, 0x1b8, v53
	;; [unrolled: 1-line block ×4, first 2 shown]
	v_lshlrev_b64 v[0:1], 4, v[0:1]
	v_add_co_u32 v94, vcc_lo, v122, v0
	v_add_co_ci_u32_e32 v95, vcc_lo, v123, v1, vcc_lo
	s_waitcnt vmcnt(7)
	v_mad_u64_u32 v[69:70], null, s3, v70, v[2:3]
	v_mad_u64_u32 v[70:71], null, s3, v71, v[51:52]
	;; [unrolled: 1-line block ×5, first 2 shown]
	v_mov_b32_e32 v89, v70
	v_mov_b32_e32 v67, v69
	v_mov_b32_e32 v91, v71
	v_mad_u64_u32 v[74:75], null, s2, v96, 0
	v_mov_b32_e32 v93, v72
	v_lshlrev_b64 v[68:69], 4, v[88:89]
	v_mad_u64_u32 v[88:89], null, s2, v98, 0
	v_lshlrev_b64 v[70:71], 4, v[90:91]
	v_lshlrev_b64 v[72:73], 4, v[92:93]
	v_mad_u64_u32 v[90:91], null, s2, v99, 0
	v_mad_u64_u32 v[92:93], null, s2, v106, 0
	v_mov_b32_e32 v2, v52
	s_waitcnt vmcnt(5) lgkmcnt(1)
	v_mul_f64 v[100:101], v[13:14], v[80:81]
	v_mul_f64 v[102:103], v[5:6], v[62:63]
	s_waitcnt vmcnt(4)
	v_mul_f64 v[104:105], v[17:18], v[35:36]
	v_mov_b32_e32 v52, v91
	v_mad_u64_u32 v[0:1], null, s3, v53, v[2:3]
	v_mov_b32_e32 v1, v75
	v_mov_b32_e32 v2, v89
	;; [unrolled: 1-line block ×3, first 2 shown]
	s_waitcnt vmcnt(0)
	v_mul_f64 v[109:110], v[33:34], v[76:77]
	v_mul_f64 v[80:81], v[11:12], v[80:81]
	;; [unrolled: 1-line block ×3, first 2 shown]
	v_mad_u64_u32 v[96:97], null, s3, v96, v[1:2]
	v_mad_u64_u32 v[1:2], null, s3, v98, v[2:3]
	;; [unrolled: 1-line block ×3, first 2 shown]
	v_mul_f64 v[98:99], v[9:10], v[54:55]
	v_mul_f64 v[54:55], v[7:8], v[54:55]
	v_mov_b32_e32 v52, v0
	v_mov_b32_e32 v75, v96
	;; [unrolled: 1-line block ×3, first 2 shown]
	v_mul_f64 v[0:1], v[21:22], v[43:44]
	v_mov_b32_e32 v91, v97
	v_mul_f64 v[96:97], v[25:26], v[47:48]
	v_mul_f64 v[43:44], v[19:20], v[43:44]
	;; [unrolled: 1-line block ×5, first 2 shown]
	v_fma_f64 v[11:12], v[11:12], v[82:83], -v[100:101]
	v_fma_f64 v[2:3], v[3:4], v[64:65], -v[102:103]
	;; [unrolled: 1-line block ×3, first 2 shown]
	v_fma_f64 v[13:14], v[82:83], v[13:14], v[80:81]
	v_fma_f64 v[17:18], v[37:38], v[17:18], v[35:36]
	v_lshlrev_b64 v[66:67], 4, v[66:67]
	v_lshlrev_b64 v[35:36], 4, v[51:52]
	v_lshlrev_b64 v[51:52], 4, v[88:89]
	v_lshlrev_b64 v[37:38], 4, v[74:75]
	v_fma_f64 v[7:8], v[7:8], v[56:57], -v[98:99]
	v_mad_u64_u32 v[106:107], null, s3, v106, v[53:54]
	v_mul_f64 v[107:108], v[29:30], v[58:59]
	v_mul_f64 v[58:59], v[27:28], v[58:59]
	v_fma_f64 v[0:1], v[19:20], v[45:46], -v[0:1]
	v_fma_f64 v[9:10], v[56:57], v[9:10], v[54:55]
	v_fma_f64 v[19:20], v[23:24], v[49:50], -v[96:97]
	v_fma_f64 v[21:22], v[45:46], v[21:22], v[43:44]
	v_fma_f64 v[25:26], v[49:50], v[25:26], v[47:48]
	v_add_co_u32 v66, vcc_lo, v122, v66
	v_fma_f64 v[4:5], v[64:65], v[5:6], v[62:63]
	v_add_co_ci_u32_e32 v67, vcc_lo, v123, v67, vcc_lo
	v_add_co_u32 v68, vcc_lo, v122, v68
	v_mov_b32_e32 v93, v106
	v_add_co_ci_u32_e32 v69, vcc_lo, v123, v69, vcc_lo
	v_add_co_u32 v70, vcc_lo, v122, v70
	v_add_co_ci_u32_e32 v71, vcc_lo, v123, v71, vcc_lo
	v_add_co_u32 v72, vcc_lo, v122, v72
	v_fma_f64 v[23:24], v[27:28], v[60:61], -v[107:108]
	v_fma_f64 v[27:28], v[31:32], v[78:79], -v[109:110]
	v_fma_f64 v[29:30], v[60:61], v[29:30], v[58:59]
	v_fma_f64 v[31:32], v[78:79], v[33:34], v[76:77]
	v_lshlrev_b64 v[55:56], 4, v[92:93]
	v_add_f64 v[47:48], v[11:12], v[15:16]
	v_add_f64 v[61:62], v[7:8], v[2:3]
	;; [unrolled: 1-line block ×3, first 2 shown]
	v_add_co_ci_u32_e32 v73, vcc_lo, v123, v73, vcc_lo
	v_add_co_u32 v43, vcc_lo, v122, v35
	v_add_co_ci_u32_e32 v44, vcc_lo, v123, v36, vcc_lo
	v_add_f64 v[33:34], v[7:8], -v[11:12]
	v_add_f64 v[35:36], v[2:3], -v[15:16]
	v_add_f64 v[96:97], v[9:10], v[4:5]
	v_add_f64 v[49:50], v[13:14], -v[17:18]
	v_add_f64 v[63:64], v[11:12], v[41:42]
	v_add_f64 v[74:75], v[9:10], -v[13:14]
	v_add_f64 v[82:83], v[13:14], -v[9:10]
	v_add_f64 v[13:14], v[13:14], v[39:40]
	v_add_f64 v[92:93], v[0:1], v[23:24]
	;; [unrolled: 1-line block ×5, first 2 shown]
	s_waitcnt lgkmcnt(0)
	v_add_f64 v[114:115], v[19:20], v[86:87]
	v_add_f64 v[120:121], v[25:26], v[84:85]
	v_add_f64 v[45:46], v[9:10], -v[4:5]
	v_add_f64 v[57:58], v[11:12], -v[7:8]
	;; [unrolled: 1-line block ×7, first 2 shown]
	v_fma_f64 v[47:48], v[47:48], -0.5, v[41:42]
	v_add_f64 v[19:20], v[19:20], -v[27:28]
	v_fma_f64 v[41:42], v[61:62], -0.5, v[41:42]
	v_lshlrev_b64 v[53:54], 4, v[90:91]
	v_add_f64 v[80:81], v[7:8], -v[2:3]
	v_add_f64 v[90:91], v[17:18], -v[4:5]
	;; [unrolled: 1-line block ×5, first 2 shown]
	v_fma_f64 v[78:79], v[78:79], -0.5, v[39:40]
	v_fma_f64 v[88:89], v[88:89], -0.5, v[86:87]
	;; [unrolled: 1-line block ×5, first 2 shown]
	v_add_f64 v[11:12], v[11:12], -v[15:16]
	v_add_f64 v[33:34], v[33:34], v[35:36]
	v_fma_f64 v[35:36], v[96:97], -0.5, v[39:40]
	v_add_f64 v[6:7], v[7:8], v[63:64]
	v_add_f64 v[8:9], v[9:10], v[13:14]
	;; [unrolled: 1-line block ×4, first 2 shown]
	v_add_f64 v[112:113], v[27:28], -v[23:24]
	v_add_f64 v[116:117], v[21:22], -v[25:26]
	v_add_f64 v[25:26], v[25:26], -v[21:22]
	v_add_f64 v[92:93], v[31:32], -v[29:30]
	v_add_f64 v[57:58], v[57:58], v[59:60]
	v_add_f64 v[59:60], v[74:75], v[76:77]
	v_fma_f64 v[21:22], v[45:46], s[14:15], v[47:48]
	v_fma_f64 v[47:48], v[45:46], s[4:5], v[47:48]
	;; [unrolled: 1-line block ×3, first 2 shown]
	v_add_f64 v[118:119], v[29:30], -v[31:32]
	v_add_f64 v[63:64], v[82:83], v[90:91]
	v_add_f64 v[39:40], v[102:103], v[104:105]
	v_fma_f64 v[96:97], v[108:109], s[4:5], v[86:87]
	v_fma_f64 v[86:87], v[108:109], s[14:15], v[86:87]
	;; [unrolled: 1-line block ×13, first 2 shown]
	v_add_f64 v[2:3], v[2:3], v[6:7]
	v_add_f64 v[4:5], v[4:5], v[8:9]
	;; [unrolled: 1-line block ×6, first 2 shown]
	v_fma_f64 v[13:14], v[49:50], s[6:7], v[21:22]
	v_fma_f64 v[21:22], v[49:50], s[10:11], v[47:48]
	;; [unrolled: 1-line block ×3, first 2 shown]
	v_add_f64 v[110:111], v[116:117], v[118:119]
	v_fma_f64 v[49:50], v[106:107], s[10:11], v[86:87]
	v_fma_f64 v[76:77], v[61:62], s[6:7], v[100:101]
	;; [unrolled: 1-line block ×13, first 2 shown]
	v_add_f64 v[0:1], v[17:18], v[4:5]
	v_add_f64 v[6:7], v[27:28], v[6:7]
	;; [unrolled: 1-line block ×4, first 2 shown]
	v_add_co_u32 v88, vcc_lo, v122, v37
	v_fma_f64 v[10:11], v[33:34], s[0:1], v[13:14]
	v_fma_f64 v[14:15], v[33:34], s[0:1], v[21:22]
	;; [unrolled: 1-line block ×5, first 2 shown]
	v_add_co_ci_u32_e32 v89, vcc_lo, v123, v38, vcc_lo
	v_fma_f64 v[22:23], v[39:40], s[0:1], v[25:26]
	v_fma_f64 v[26:27], v[39:40], s[0:1], v[29:30]
	;; [unrolled: 1-line block ×11, first 2 shown]
	v_add_co_u32 v40, vcc_lo, v122, v51
	v_add_co_ci_u32_e32 v41, vcc_lo, v123, v52, vcc_lo
	v_add_co_u32 v45, vcc_lo, v122, v53
	v_add_co_ci_u32_e32 v46, vcc_lo, v123, v54, vcc_lo
	;; [unrolled: 2-line block ×3, first 2 shown]
	global_store_dwordx4 v[94:95], v[4:7], off
	global_store_dwordx4 v[66:67], v[32:35], off
	;; [unrolled: 1-line block ×10, first 2 shown]
.LBB0_19:
	s_endpgm
	.section	.rodata,"a",@progbits
	.p2align	6, 0x0
	.amdhsa_kernel fft_rtc_back_len1100_factors_2_2_11_5_5_wgs_110_tpt_110_dp_ip_CI_sbrr_dirReg
		.amdhsa_group_segment_fixed_size 0
		.amdhsa_private_segment_fixed_size 0
		.amdhsa_kernarg_size 88
		.amdhsa_user_sgpr_count 6
		.amdhsa_user_sgpr_private_segment_buffer 1
		.amdhsa_user_sgpr_dispatch_ptr 0
		.amdhsa_user_sgpr_queue_ptr 0
		.amdhsa_user_sgpr_kernarg_segment_ptr 1
		.amdhsa_user_sgpr_dispatch_id 0
		.amdhsa_user_sgpr_flat_scratch_init 0
		.amdhsa_user_sgpr_private_segment_size 0
		.amdhsa_wavefront_size32 1
		.amdhsa_uses_dynamic_stack 0
		.amdhsa_system_sgpr_private_segment_wavefront_offset 0
		.amdhsa_system_sgpr_workgroup_id_x 1
		.amdhsa_system_sgpr_workgroup_id_y 0
		.amdhsa_system_sgpr_workgroup_id_z 0
		.amdhsa_system_sgpr_workgroup_info 0
		.amdhsa_system_vgpr_workitem_id 0
		.amdhsa_next_free_vgpr 252
		.amdhsa_next_free_sgpr 34
		.amdhsa_reserve_vcc 1
		.amdhsa_reserve_flat_scratch 0
		.amdhsa_float_round_mode_32 0
		.amdhsa_float_round_mode_16_64 0
		.amdhsa_float_denorm_mode_32 3
		.amdhsa_float_denorm_mode_16_64 3
		.amdhsa_dx10_clamp 1
		.amdhsa_ieee_mode 1
		.amdhsa_fp16_overflow 0
		.amdhsa_workgroup_processor_mode 1
		.amdhsa_memory_ordered 1
		.amdhsa_forward_progress 0
		.amdhsa_shared_vgpr_count 0
		.amdhsa_exception_fp_ieee_invalid_op 0
		.amdhsa_exception_fp_denorm_src 0
		.amdhsa_exception_fp_ieee_div_zero 0
		.amdhsa_exception_fp_ieee_overflow 0
		.amdhsa_exception_fp_ieee_underflow 0
		.amdhsa_exception_fp_ieee_inexact 0
		.amdhsa_exception_int_div_zero 0
	.end_amdhsa_kernel
	.text
.Lfunc_end0:
	.size	fft_rtc_back_len1100_factors_2_2_11_5_5_wgs_110_tpt_110_dp_ip_CI_sbrr_dirReg, .Lfunc_end0-fft_rtc_back_len1100_factors_2_2_11_5_5_wgs_110_tpt_110_dp_ip_CI_sbrr_dirReg
                                        ; -- End function
	.section	.AMDGPU.csdata,"",@progbits
; Kernel info:
; codeLenInByte = 9884
; NumSgprs: 36
; NumVgprs: 252
; ScratchSize: 0
; MemoryBound: 1
; FloatMode: 240
; IeeeMode: 1
; LDSByteSize: 0 bytes/workgroup (compile time only)
; SGPRBlocks: 4
; VGPRBlocks: 31
; NumSGPRsForWavesPerEU: 36
; NumVGPRsForWavesPerEU: 252
; Occupancy: 4
; WaveLimiterHint : 1
; COMPUTE_PGM_RSRC2:SCRATCH_EN: 0
; COMPUTE_PGM_RSRC2:USER_SGPR: 6
; COMPUTE_PGM_RSRC2:TRAP_HANDLER: 0
; COMPUTE_PGM_RSRC2:TGID_X_EN: 1
; COMPUTE_PGM_RSRC2:TGID_Y_EN: 0
; COMPUTE_PGM_RSRC2:TGID_Z_EN: 0
; COMPUTE_PGM_RSRC2:TIDIG_COMP_CNT: 0
	.text
	.p2alignl 6, 3214868480
	.fill 48, 4, 3214868480
	.type	__hip_cuid_a464e3ec5bf0c5d2,@object ; @__hip_cuid_a464e3ec5bf0c5d2
	.section	.bss,"aw",@nobits
	.globl	__hip_cuid_a464e3ec5bf0c5d2
__hip_cuid_a464e3ec5bf0c5d2:
	.byte	0                               ; 0x0
	.size	__hip_cuid_a464e3ec5bf0c5d2, 1

	.ident	"AMD clang version 19.0.0git (https://github.com/RadeonOpenCompute/llvm-project roc-6.4.0 25133 c7fe45cf4b819c5991fe208aaa96edf142730f1d)"
	.section	".note.GNU-stack","",@progbits
	.addrsig
	.addrsig_sym __hip_cuid_a464e3ec5bf0c5d2
	.amdgpu_metadata
---
amdhsa.kernels:
  - .args:
      - .actual_access:  read_only
        .address_space:  global
        .offset:         0
        .size:           8
        .value_kind:     global_buffer
      - .offset:         8
        .size:           8
        .value_kind:     by_value
      - .actual_access:  read_only
        .address_space:  global
        .offset:         16
        .size:           8
        .value_kind:     global_buffer
      - .actual_access:  read_only
        .address_space:  global
        .offset:         24
        .size:           8
        .value_kind:     global_buffer
      - .offset:         32
        .size:           8
        .value_kind:     by_value
      - .actual_access:  read_only
        .address_space:  global
        .offset:         40
        .size:           8
        .value_kind:     global_buffer
      - .actual_access:  read_only
        .address_space:  global
        .offset:         48
        .size:           8
        .value_kind:     global_buffer
      - .offset:         56
        .size:           4
        .value_kind:     by_value
      - .actual_access:  read_only
        .address_space:  global
        .offset:         64
        .size:           8
        .value_kind:     global_buffer
      - .actual_access:  read_only
        .address_space:  global
        .offset:         72
        .size:           8
        .value_kind:     global_buffer
      - .address_space:  global
        .offset:         80
        .size:           8
        .value_kind:     global_buffer
    .group_segment_fixed_size: 0
    .kernarg_segment_align: 8
    .kernarg_segment_size: 88
    .language:       OpenCL C
    .language_version:
      - 2
      - 0
    .max_flat_workgroup_size: 110
    .name:           fft_rtc_back_len1100_factors_2_2_11_5_5_wgs_110_tpt_110_dp_ip_CI_sbrr_dirReg
    .private_segment_fixed_size: 0
    .sgpr_count:     36
    .sgpr_spill_count: 0
    .symbol:         fft_rtc_back_len1100_factors_2_2_11_5_5_wgs_110_tpt_110_dp_ip_CI_sbrr_dirReg.kd
    .uniform_work_group_size: 1
    .uses_dynamic_stack: false
    .vgpr_count:     252
    .vgpr_spill_count: 0
    .wavefront_size: 32
    .workgroup_processor_mode: 1
amdhsa.target:   amdgcn-amd-amdhsa--gfx1030
amdhsa.version:
  - 1
  - 2
...

	.end_amdgpu_metadata
